;; amdgpu-corpus repo=zjin-lcf/HeCBench kind=compiled arch=gfx90a opt=O3
	.text
	.amdgcn_target "amdgcn-amd-amdhsa--gfx90a"
	.amdhsa_code_object_version 6
	.protected	_Z14generate_tablePiii  ; -- Begin function _Z14generate_tablePiii
	.globl	_Z14generate_tablePiii
	.p2align	8
	.type	_Z14generate_tablePiii,@function
_Z14generate_tablePiii:                 ; @_Z14generate_tablePiii
; %bb.0:
	s_load_dword s7, s[4:5], 0x1c
	s_load_dwordx2 s[2:3], s[4:5], 0x8
	s_add_u32 s0, s4, 16
	s_addc_u32 s1, s5, 0
	s_waitcnt lgkmcnt(0)
	s_and_b32 s7, s7, 0xffff
	s_mul_i32 s8, s6, s7
	v_add_u32_e32 v2, s8, v0
	v_cmp_gt_i32_e32 vcc, s2, v2
	s_and_saveexec_b64 s[8:9], vcc
	s_cbranch_execz .LBB0_8
; %bb.1:
	s_load_dword s10, s[0:1], 0x0
	s_load_dwordx2 s[8:9], s[4:5], 0x0
	s_waitcnt lgkmcnt(0)
	s_mul_i32 s4, s10, s7
	v_cvt_f32_u32_e32 v1, s4
	s_add_i32 s0, s6, s10
	s_mul_i32 s0, s0, s7
	s_sub_i32 s5, 0, s4
	v_rcp_iflag_f32_e32 v1, v1
	v_add_u32_e32 v3, s0, v0
	v_mov_b32_e32 v4, s0
	v_max_i32_e32 v5, s2, v3
	v_mul_f32_e32 v1, 0x4f7ffffe, v1
	v_cvt_u32_f32_e32 v1, v1
	v_cmp_gt_i32_e32 vcc, s2, v3
	v_addc_co_u32_e64 v0, s[0:1], v0, v4, vcc
	v_mul_lo_u32 v3, s5, v1
	v_mul_hi_u32 v3, v1, v3
	v_sub_u32_e32 v0, v5, v0
	v_add_u32_e32 v1, v1, v3
	v_mul_hi_u32 v1, v0, v1
	v_mul_lo_u32 v3, v1, s4
	v_sub_u32_e32 v0, v0, v3
	v_add_u32_e32 v4, 1, v1
	v_cmp_le_u32_e64 s[0:1], s4, v0
	v_subrev_u32_e32 v3, s4, v0
	v_cndmask_b32_e64 v1, v1, v4, s[0:1]
	v_cndmask_b32_e64 v0, v0, v3, s[0:1]
	v_add_u32_e32 v3, 1, v1
	v_cmp_le_u32_e64 s[0:1], s4, v0
	v_cndmask_b32_e64 v0, v1, v3, s[0:1]
	v_addc_co_u32_e32 v4, vcc, 1, v0, vcc
	v_cmp_lt_u32_e32 vcc, 1, v4
	s_mov_b64 s[0:1], -1
	s_and_saveexec_b64 s[6:7], vcc
	s_cbranch_execz .LBB0_5
; %bb.2:
	v_and_b32_e32 v5, -2, v4
	v_add_u32_e32 v3, s4, v2
	s_lshl_b32 s5, s4, 1
	s_mov_b32 s12, s5
	s_mov_b32 s13, s3
	;; [unrolled: 1-line block ×3, first 2 shown]
	s_mov_b64 s[10:11], 0
	v_mov_b32_e32 v6, s9
	v_mov_b32_e32 v7, v5
	v_pk_mov_b32 v[0:1], v[2:3], v[2:3] op_sel:[0,1]
.LBB0_3:                                ; =>This Inner Loop Header: Depth=1
	v_ashrrev_i32_e32 v11, 31, v0
	v_mov_b32_e32 v10, v0
	v_cmp_gt_i32_e32 vcc, s14, v1
	v_lshlrev_b64 v[10:11], 2, v[10:11]
	v_cndmask_b32_e32 v3, -1, v1, vcc
	v_cmp_gt_i32_e32 vcc, s13, v0
	v_ashrrev_i32_e32 v9, 31, v1
	v_mov_b32_e32 v8, v1
	v_add_u32_e32 v7, -2, v7
	v_add_co_u32_e64 v10, s[0:1], s8, v10
	v_cndmask_b32_e32 v12, -1, v0, vcc
	v_lshlrev_b64 v[8:9], 2, v[8:9]
	v_cmp_eq_u32_e32 vcc, 0, v7
	v_addc_co_u32_e64 v11, s[0:1], v6, v11, s[0:1]
	v_add_u32_e32 v1, s12, v1
	v_add_u32_e32 v0, s5, v0
	v_add_co_u32_e64 v8, s[0:1], s8, v8
	s_or_b64 s[10:11], vcc, s[10:11]
	v_addc_co_u32_e64 v9, s[0:1], v6, v9, s[0:1]
	global_store_dword v[10:11], v12, off
	global_store_dword v[8:9], v3, off
	s_andn2_b64 exec, exec, s[10:11]
	s_cbranch_execnz .LBB0_3
; %bb.4:
	s_or_b64 exec, exec, s[10:11]
	v_mad_u64_u32 v[2:3], s[0:1], v5, s4, v[2:3]
	v_cmp_ne_u32_e32 vcc, v4, v5
	s_orn2_b64 s[0:1], vcc, exec
.LBB0_5:
	s_or_b64 exec, exec, s[6:7]
	s_and_b64 exec, exec, s[0:1]
	s_cbranch_execz .LBB0_8
; %bb.6:
	v_ashrrev_i32_e32 v3, 31, v2
	v_lshlrev_b64 v[0:1], 2, v[2:3]
	s_ashr_i32 s5, s4, 31
	v_mov_b32_e32 v3, s9
	v_add_co_u32_e32 v0, vcc, s8, v0
	s_lshl_b64 s[6:7], s[4:5], 2
	v_addc_co_u32_e32 v1, vcc, v3, v1, vcc
	s_mov_b64 s[8:9], 0
	v_mov_b32_e32 v3, s7
.LBB0_7:                                ; =>This Inner Loop Header: Depth=1
	v_cmp_gt_i32_e32 vcc, s3, v2
	v_cndmask_b32_e32 v4, -1, v2, vcc
	v_add_u32_e32 v2, s4, v2
	global_store_dword v[0:1], v4, off
	v_cmp_le_i32_e32 vcc, s2, v2
	v_add_co_u32_e64 v0, s[0:1], s6, v0
	s_or_b64 s[8:9], vcc, s[8:9]
	v_addc_co_u32_e64 v1, vcc, v1, v3, s[0:1]
	s_andn2_b64 exec, exec, s[8:9]
	s_cbranch_execnz .LBB0_7
.LBB0_8:
	s_endpgm
	.section	.rodata,"a",@progbits
	.p2align	6, 0x0
	.amdhsa_kernel _Z14generate_tablePiii
		.amdhsa_group_segment_fixed_size 0
		.amdhsa_private_segment_fixed_size 0
		.amdhsa_kernarg_size 272
		.amdhsa_user_sgpr_count 6
		.amdhsa_user_sgpr_private_segment_buffer 1
		.amdhsa_user_sgpr_dispatch_ptr 0
		.amdhsa_user_sgpr_queue_ptr 0
		.amdhsa_user_sgpr_kernarg_segment_ptr 1
		.amdhsa_user_sgpr_dispatch_id 0
		.amdhsa_user_sgpr_flat_scratch_init 0
		.amdhsa_user_sgpr_kernarg_preload_length 0
		.amdhsa_user_sgpr_kernarg_preload_offset 0
		.amdhsa_user_sgpr_private_segment_size 0
		.amdhsa_uses_dynamic_stack 0
		.amdhsa_system_sgpr_private_segment_wavefront_offset 0
		.amdhsa_system_sgpr_workgroup_id_x 1
		.amdhsa_system_sgpr_workgroup_id_y 0
		.amdhsa_system_sgpr_workgroup_id_z 0
		.amdhsa_system_sgpr_workgroup_info 0
		.amdhsa_system_vgpr_workitem_id 0
		.amdhsa_next_free_vgpr 13
		.amdhsa_next_free_sgpr 15
		.amdhsa_accum_offset 16
		.amdhsa_reserve_vcc 1
		.amdhsa_reserve_flat_scratch 0
		.amdhsa_float_round_mode_32 0
		.amdhsa_float_round_mode_16_64 0
		.amdhsa_float_denorm_mode_32 3
		.amdhsa_float_denorm_mode_16_64 3
		.amdhsa_dx10_clamp 1
		.amdhsa_ieee_mode 1
		.amdhsa_fp16_overflow 0
		.amdhsa_tg_split 0
		.amdhsa_exception_fp_ieee_invalid_op 0
		.amdhsa_exception_fp_denorm_src 0
		.amdhsa_exception_fp_ieee_div_zero 0
		.amdhsa_exception_fp_ieee_overflow 0
		.amdhsa_exception_fp_ieee_underflow 0
		.amdhsa_exception_fp_ieee_inexact 0
		.amdhsa_exception_int_div_zero 0
	.end_amdhsa_kernel
	.text
.Lfunc_end0:
	.size	_Z14generate_tablePiii, .Lfunc_end0-_Z14generate_tablePiii
                                        ; -- End function
	.section	.AMDGPU.csdata,"",@progbits
; Kernel info:
; codeLenInByte = 548
; NumSgprs: 19
; NumVgprs: 13
; NumAgprs: 0
; TotalNumVgprs: 13
; ScratchSize: 0
; MemoryBound: 0
; FloatMode: 240
; IeeeMode: 1
; LDSByteSize: 0 bytes/workgroup (compile time only)
; SGPRBlocks: 2
; VGPRBlocks: 1
; NumSGPRsForWavesPerEU: 19
; NumVGPRsForWavesPerEU: 13
; AccumOffset: 16
; Occupancy: 8
; WaveLimiterHint : 0
; COMPUTE_PGM_RSRC2:SCRATCH_EN: 0
; COMPUTE_PGM_RSRC2:USER_SGPR: 6
; COMPUTE_PGM_RSRC2:TRAP_HANDLER: 0
; COMPUTE_PGM_RSRC2:TGID_X_EN: 1
; COMPUTE_PGM_RSRC2:TGID_Y_EN: 0
; COMPUTE_PGM_RSRC2:TGID_Z_EN: 0
; COMPUTE_PGM_RSRC2:TIDIG_COMP_CNT: 0
; COMPUTE_PGM_RSRC3_GFX90A:ACCUM_OFFSET: 3
; COMPUTE_PGM_RSRC3_GFX90A:TG_SPLIT: 0
	.text
	.protected	_Z17bitonic_sort_stepPiiiiPKci ; -- Begin function _Z17bitonic_sort_stepPiiiiPKci
	.globl	_Z17bitonic_sort_stepPiiiiPKci
	.p2align	8
	.type	_Z17bitonic_sort_stepPiiiiPKci,@function
_Z17bitonic_sort_stepPiiiiPKci:         ; @_Z17bitonic_sort_stepPiiiiPKci
; %bb.0:
	s_load_dword s7, s[4:5], 0x34
	s_load_dwordx4 s[0:3], s[4:5], 0x8
	s_waitcnt lgkmcnt(0)
	s_and_b32 s3, s7, 0xffff
	s_mul_i32 s6, s6, s3
	v_add_u32_e32 v4, s6, v0
	v_xor_b32_e32 v2, s1, v4
	v_min_u32_e32 v0, s0, v2
	v_cmp_gt_u32_e32 vcc, v0, v4
	s_and_saveexec_b64 s[0:1], vcc
	s_cbranch_execz .LBB1_15
; %bb.1:
	s_load_dwordx2 s[0:1], s[4:5], 0x0
	v_mov_b32_e32 v5, 0
	v_lshlrev_b64 v[0:1], 2, v[4:5]
	v_mov_b32_e32 v3, v5
	v_lshlrev_b64 v[2:3], 2, v[2:3]
	s_waitcnt lgkmcnt(0)
	v_mov_b32_e32 v6, s1
	v_add_co_u32_e32 v0, vcc, s0, v0
	v_addc_co_u32_e32 v1, vcc, v6, v1, vcc
	v_add_co_u32_e32 v2, vcc, s0, v2
	v_addc_co_u32_e32 v3, vcc, v6, v3, vcc
	global_load_dword v8, v[0:1], off
	global_load_dword v9, v[2:3], off
	v_and_b32_e32 v4, s2, v4
	v_cmp_eq_u32_e32 vcc, 0, v4
	s_waitcnt vmcnt(0)
	v_cndmask_b32_e32 v10, v8, v9, vcc
	v_cmp_lt_i32_e64 s[0:1], -1, v10
	s_and_b64 exec, exec, s[0:1]
	s_cbranch_execz .LBB1_15
; %bb.2:
	v_cndmask_b32_e32 v11, v9, v8, vcc
	v_cmp_lt_i32_e32 vcc, -1, v11
	s_mov_b64 s[2:3], -1
	s_and_saveexec_b64 s[0:1], vcc
	s_cbranch_execz .LBB1_13
; %bb.3:
	s_load_dword s22, s[4:5], 0x20
	s_waitcnt lgkmcnt(0)
	s_cmp_lt_i32 s22, 1
	s_cbranch_scc1 .LBB1_11
; %bb.4:
	v_cvt_f32_u32_e32 v4, s22
	s_load_dwordx2 s[4:5], s[4:5], 0x18
	s_sub_i32 s2, 0, s22
	s_mov_b32 s23, 0
	v_rcp_iflag_f32_e32 v4, v4
	s_mov_b64 s[12:13], -1
	s_mov_b64 s[8:9], 0
                                        ; implicit-def: $sgpr6_sgpr7
                                        ; implicit-def: $sgpr10_sgpr11
                                        ; implicit-def: $sgpr16_sgpr17
                                        ; implicit-def: $sgpr14_sgpr15
	v_mul_f32_e32 v4, 0x4f7ffffe, v4
	v_cvt_u32_f32_e32 v4, v4
	v_mul_lo_u32 v5, s2, v4
	v_mul_hi_u32 v5, v4, v5
	v_add_u32_e32 v12, v4, v5
	v_mad_u64_u32 v[4:5], s[2:3], v11, v12, 0
	v_mad_u64_u32 v[6:7], s[2:3], v10, v12, 0
                                        ; implicit-def: $sgpr2_sgpr3
	s_branch .LBB1_6
.LBB1_5:                                ;   in Loop: Header=BB1_6 Depth=1
	s_or_b64 exec, exec, s[20:21]
	s_and_b64 s[20:21], exec, s[16:17]
	s_or_b64 s[8:9], s[20:21], s[8:9]
	s_andn2_b64 s[10:11], s[10:11], exec
	s_and_b64 s[20:21], s[14:15], exec
	s_or_b64 s[10:11], s[10:11], s[20:21]
	s_andn2_b64 s[2:3], s[2:3], exec
	s_and_b64 s[20:21], s[18:19], exec
	s_andn2_b64 s[6:7], s[6:7], exec
	s_and_b64 s[12:13], s[12:13], exec
	s_or_b64 s[2:3], s[2:3], s[20:21]
	s_or_b64 s[6:7], s[6:7], s[12:13]
	s_mov_b64 s[12:13], s[18:19]
	s_andn2_b64 exec, exec, s[8:9]
	s_cbranch_execz .LBB1_8
.LBB1_6:                                ; =>This Inner Loop Header: Depth=1
	v_mul_lo_u32 v15, s22, v7
	v_sub_u32_e32 v15, v10, v15
	v_not_b32_e32 v16, v7
	v_mul_lo_u32 v16, s22, v16
	v_add_u32_e32 v15, s23, v15
	v_mul_lo_u32 v13, s22, v5
	v_add3_u32 v16, v10, v16, s23
	v_cmp_le_u32_e32 vcc, s22, v15
	v_sub_u32_e32 v13, v11, v13
	v_not_b32_e32 v14, v5
	v_cndmask_b32_e32 v15, v15, v16, vcc
	v_mul_lo_u32 v14, s22, v14
	v_subrev_u32_e32 v16, s22, v15
	v_cmp_le_u32_e32 vcc, s22, v15
	v_add_u32_e32 v13, s23, v13
	v_cndmask_b32_e32 v15, v15, v16, vcc
	v_add3_u32 v14, v11, v14, s23
	v_cmp_le_u32_e32 vcc, s22, v13
	v_cndmask_b32_e32 v13, v13, v14, vcc
	v_subrev_u32_e32 v14, s22, v13
	v_cmp_le_u32_e32 vcc, s22, v13
	v_cndmask_b32_e32 v16, v13, v14, vcc
	s_waitcnt lgkmcnt(0)
	global_load_ubyte v13, v15, s[4:5]
	global_load_ubyte v14, v16, s[4:5]
	s_or_b64 s[14:15], s[14:15], exec
	s_or_b64 s[16:17], s[16:17], exec
                                        ; implicit-def: $sgpr18_sgpr19
	s_waitcnt vmcnt(0)
	v_cmp_eq_u16_e32 vcc, v13, v14
	s_and_saveexec_b64 s[20:21], vcc
	s_cbranch_execz .LBB1_5
; %bb.7:                                ;   in Loop: Header=BB1_6 Depth=1
	s_add_i32 s23, s23, 1
	s_cmp_lt_i32 s23, s22
	s_cselect_b64 s[18:19], -1, 0
	v_add_co_u32_e32 v4, vcc, v4, v12
	s_cmp_eq_u32 s22, s23
	v_addc_co_u32_e32 v5, vcc, 0, v5, vcc
	s_cselect_b64 s[24:25], -1, 0
	v_add_co_u32_e32 v6, vcc, v6, v12
	s_andn2_b64 s[16:17], s[16:17], exec
	s_and_b64 s[24:25], s[24:25], exec
	v_addc_co_u32_e32 v7, vcc, 0, v7, vcc
	s_andn2_b64 s[14:15], s[14:15], exec
	s_or_b64 s[16:17], s[16:17], s[24:25]
	s_branch .LBB1_5
.LBB1_8:
	s_or_b64 exec, exec, s[8:9]
                                        ; implicit-def: $sgpr4_sgpr5
	s_and_saveexec_b64 s[8:9], s[10:11]
	s_xor_b64 s[8:9], exec, s[8:9]
; %bb.9:
	v_cmp_lt_i16_sdwa s[4:5], sext(v13), sext(v14) src0_sel:BYTE_0 src1_sel:BYTE_0
	s_andn2_b64 s[2:3], s[2:3], exec
	s_and_b64 s[6:7], s[6:7], exec
	s_and_b64 s[4:5], s[4:5], exec
	s_or_b64 s[2:3], s[2:3], s[6:7]
; %bb.10:
	s_or_b64 exec, exec, s[8:9]
	s_branch .LBB1_12
.LBB1_11:
	s_mov_b64 s[2:3], 0
                                        ; implicit-def: $sgpr4_sgpr5
.LBB1_12:
	s_and_b64 s[2:3], s[2:3], s[4:5]
	s_orn2_b64 s[2:3], s[2:3], exec
.LBB1_13:
	s_or_b64 exec, exec, s[0:1]
	s_and_b64 exec, exec, s[2:3]
	s_cbranch_execz .LBB1_15
; %bb.14:
	global_store_dword v[0:1], v9, off
	global_store_dword v[2:3], v8, off
.LBB1_15:
	s_endpgm
	.section	.rodata,"a",@progbits
	.p2align	6, 0x0
	.amdhsa_kernel _Z17bitonic_sort_stepPiiiiPKci
		.amdhsa_group_segment_fixed_size 0
		.amdhsa_private_segment_fixed_size 0
		.amdhsa_kernarg_size 296
		.amdhsa_user_sgpr_count 6
		.amdhsa_user_sgpr_private_segment_buffer 1
		.amdhsa_user_sgpr_dispatch_ptr 0
		.amdhsa_user_sgpr_queue_ptr 0
		.amdhsa_user_sgpr_kernarg_segment_ptr 1
		.amdhsa_user_sgpr_dispatch_id 0
		.amdhsa_user_sgpr_flat_scratch_init 0
		.amdhsa_user_sgpr_kernarg_preload_length 0
		.amdhsa_user_sgpr_kernarg_preload_offset 0
		.amdhsa_user_sgpr_private_segment_size 0
		.amdhsa_uses_dynamic_stack 0
		.amdhsa_system_sgpr_private_segment_wavefront_offset 0
		.amdhsa_system_sgpr_workgroup_id_x 1
		.amdhsa_system_sgpr_workgroup_id_y 0
		.amdhsa_system_sgpr_workgroup_id_z 0
		.amdhsa_system_sgpr_workgroup_info 0
		.amdhsa_system_vgpr_workitem_id 0
		.amdhsa_next_free_vgpr 17
		.amdhsa_next_free_sgpr 26
		.amdhsa_accum_offset 20
		.amdhsa_reserve_vcc 1
		.amdhsa_reserve_flat_scratch 0
		.amdhsa_float_round_mode_32 0
		.amdhsa_float_round_mode_16_64 0
		.amdhsa_float_denorm_mode_32 3
		.amdhsa_float_denorm_mode_16_64 3
		.amdhsa_dx10_clamp 1
		.amdhsa_ieee_mode 1
		.amdhsa_fp16_overflow 0
		.amdhsa_tg_split 0
		.amdhsa_exception_fp_ieee_invalid_op 0
		.amdhsa_exception_fp_denorm_src 0
		.amdhsa_exception_fp_ieee_div_zero 0
		.amdhsa_exception_fp_ieee_overflow 0
		.amdhsa_exception_fp_ieee_underflow 0
		.amdhsa_exception_fp_ieee_inexact 0
		.amdhsa_exception_int_div_zero 0
	.end_amdhsa_kernel
	.text
.Lfunc_end1:
	.size	_Z17bitonic_sort_stepPiiiiPKci, .Lfunc_end1-_Z17bitonic_sort_stepPiiiiPKci
                                        ; -- End function
	.section	.AMDGPU.csdata,"",@progbits
; Kernel info:
; codeLenInByte = 644
; NumSgprs: 30
; NumVgprs: 17
; NumAgprs: 0
; TotalNumVgprs: 17
; ScratchSize: 0
; MemoryBound: 0
; FloatMode: 240
; IeeeMode: 1
; LDSByteSize: 0 bytes/workgroup (compile time only)
; SGPRBlocks: 3
; VGPRBlocks: 2
; NumSGPRsForWavesPerEU: 30
; NumVGPRsForWavesPerEU: 17
; AccumOffset: 20
; Occupancy: 8
; WaveLimiterHint : 1
; COMPUTE_PGM_RSRC2:SCRATCH_EN: 0
; COMPUTE_PGM_RSRC2:USER_SGPR: 6
; COMPUTE_PGM_RSRC2:TRAP_HANDLER: 0
; COMPUTE_PGM_RSRC2:TGID_X_EN: 1
; COMPUTE_PGM_RSRC2:TGID_Y_EN: 0
; COMPUTE_PGM_RSRC2:TGID_Z_EN: 0
; COMPUTE_PGM_RSRC2:TIDIG_COMP_CNT: 0
; COMPUTE_PGM_RSRC3_GFX90A:ACCUM_OFFSET: 4
; COMPUTE_PGM_RSRC3_GFX90A:TG_SPLIT: 0
	.text
	.protected	_Z20reconstruct_sequencePKiPKcPci ; -- Begin function _Z20reconstruct_sequencePKiPKcPci
	.globl	_Z20reconstruct_sequencePKiPKcPci
	.p2align	8
	.type	_Z20reconstruct_sequencePKiPKcPci,@function
_Z20reconstruct_sequencePKiPKcPci:      ; @_Z20reconstruct_sequencePKiPKcPci
; %bb.0:
	s_load_dword s2, s[4:5], 0x2c
	s_load_dword s14, s[4:5], 0x18
	s_add_u32 s0, s4, 32
	s_addc_u32 s1, s5, 0
	s_waitcnt lgkmcnt(0)
	s_and_b32 s7, s2, 0xffff
	s_mul_i32 s2, s6, s7
	v_add_u32_e32 v2, s2, v0
	v_cmp_gt_i32_e32 vcc, s14, v2
	s_and_saveexec_b64 s[2:3], vcc
	s_cbranch_execz .LBB2_10
; %bb.1:
	s_load_dword s12, s[0:1], 0x0
	s_load_dwordx4 s[8:11], s[4:5], 0x0
	s_load_dwordx2 s[2:3], s[4:5], 0x10
	s_add_i32 s15, s14, -1
	s_waitcnt lgkmcnt(0)
	s_mul_i32 s4, s12, s7
	v_cvt_f32_u32_e32 v1, s4
	s_add_i32 s0, s6, s12
	s_mul_i32 s0, s0, s7
	s_sub_i32 s5, 0, s4
	v_rcp_iflag_f32_e32 v1, v1
	v_add_u32_e32 v3, s0, v0
	v_mov_b32_e32 v4, s0
	v_max_i32_e32 v5, s14, v3
	v_mul_f32_e32 v1, 0x4f7ffffe, v1
	v_cvt_u32_f32_e32 v1, v1
	v_cmp_gt_i32_e32 vcc, s14, v3
	v_addc_co_u32_e64 v0, s[0:1], v0, v4, vcc
	v_mul_lo_u32 v3, s5, v1
	v_mul_hi_u32 v3, v1, v3
	v_sub_u32_e32 v0, v5, v0
	v_add_u32_e32 v1, v1, v3
	v_mul_hi_u32 v1, v0, v1
	v_mul_lo_u32 v3, v1, s4
	v_sub_u32_e32 v0, v0, v3
	v_add_u32_e32 v3, 1, v1
	v_cmp_le_u32_e64 s[0:1], s4, v0
	v_cndmask_b32_e64 v1, v1, v3, s[0:1]
	v_subrev_u32_e32 v3, s4, v0
	v_cndmask_b32_e64 v0, v0, v3, s[0:1]
	v_add_u32_e32 v3, 1, v1
	v_cmp_le_u32_e64 s[0:1], s4, v0
	v_cndmask_b32_e64 v0, v1, v3, s[0:1]
	v_addc_co_u32_e32 v6, vcc, 1, v0, vcc
	v_cmp_lt_u32_e32 vcc, 1, v6
	s_mov_b64 s[0:1], 0
                                        ; implicit-def: $sgpr5
                                        ; implicit-def: $vgpr0_vgpr1
	s_and_saveexec_b64 s[6:7], vcc
	s_xor_b64 s[6:7], exec, s[6:7]
	s_cbranch_execnz .LBB2_4
; %bb.2:
	s_or_saveexec_b64 s[6:7], s[6:7]
	v_mov_b32_e32 v6, s5
	s_xor_b64 exec, exec, s[6:7]
	s_cbranch_execnz .LBB2_7
.LBB2_3:
	s_or_b64 exec, exec, s[6:7]
	s_and_b64 exec, exec, s[0:1]
	s_cbranch_execnz .LBB2_8
	s_branch .LBB2_10
.LBB2_4:
	s_abs_i32 s5, s14
	v_cvt_f32_u32_e32 v0, s5
	s_sub_i32 s0, 0, s5
	v_and_b32_e32 v7, -2, v6
	v_add_u32_e32 v3, s4, v2
	v_rcp_iflag_f32_e32 v0, v0
	s_lshl_b32 s16, s4, 1
	s_mov_b32 s17, s15
	v_mov_b32_e32 v1, 0
	v_mul_f32_e32 v0, 0x4f7ffffe, v0
	v_cvt_u32_f32_e32 v0, v0
	s_mov_b64 s[12:13], 0
	v_mov_b32_e32 v8, s9
	s_mov_b32 s18, s16
	v_mul_lo_u32 v4, s0, v0
	v_mul_hi_u32 v4, v0, v4
	v_add_u32_e32 v0, v0, v4
	v_mov_b32_e32 v9, s11
	v_mov_b32_e32 v10, s3
	;; [unrolled: 1-line block ×3, first 2 shown]
	v_pk_mov_b32 v[4:5], v[2:3], v[2:3] op_sel:[0,1]
.LBB2_5:                                ; =>This Inner Loop Header: Depth=1
	v_ashrrev_i32_e32 v15, 31, v4
	v_mov_b32_e32 v14, v4
	v_lshlrev_b64 v[16:17], 2, v[14:15]
	v_ashrrev_i32_e32 v13, 31, v5
	v_mov_b32_e32 v12, v5
	v_add_co_u32_e32 v16, vcc, s8, v16
	v_lshlrev_b64 v[18:19], 2, v[12:13]
	v_addc_co_u32_e32 v17, vcc, v8, v17, vcc
	v_add_co_u32_e32 v18, vcc, s8, v18
	v_addc_co_u32_e32 v19, vcc, v8, v19, vcc
	global_load_dword v3, v[18:19], off
	global_load_dword v20, v[16:17], off
	v_add_u32_e32 v11, -2, v11
	v_add_u32_e32 v5, s18, v5
	v_add_u32_e32 v4, s16, v4
	s_waitcnt vmcnt(1)
	v_add_u32_e32 v3, s17, v3
	s_waitcnt vmcnt(0)
	v_add_u32_e32 v16, s15, v20
	v_sub_u32_e32 v18, 0, v16
	v_ashrrev_i32_e32 v17, 31, v16
	v_sub_u32_e32 v20, 0, v3
	v_max_i32_e32 v16, v16, v18
	v_ashrrev_i32_e32 v19, 31, v3
	v_max_i32_e32 v3, v3, v20
	v_mul_hi_u32 v18, v16, v0
	v_mul_hi_u32 v20, v3, v0
	v_mul_lo_u32 v18, v18, s5
	v_mul_lo_u32 v20, v20, s5
	v_sub_u32_e32 v16, v16, v18
	v_sub_u32_e32 v3, v3, v20
	v_subrev_u32_e32 v18, s5, v16
	v_cmp_le_u32_e64 s[0:1], s5, v16
	v_subrev_u32_e32 v20, s5, v3
	v_cmp_le_u32_e32 vcc, s5, v3
	v_cndmask_b32_e64 v16, v16, v18, s[0:1]
	v_cndmask_b32_e32 v3, v3, v20, vcc
	v_subrev_u32_e32 v18, s5, v16
	v_cmp_le_u32_e64 s[0:1], s5, v16
	v_subrev_u32_e32 v20, s5, v3
	v_cmp_le_u32_e32 vcc, s5, v3
	v_cndmask_b32_e64 v16, v16, v18, s[0:1]
	v_cndmask_b32_e32 v3, v3, v20, vcc
	v_xor_b32_e32 v16, v16, v17
	v_xor_b32_e32 v3, v3, v19
	v_sub_u32_e32 v17, v16, v17
	v_sub_u32_e32 v3, v3, v19
	v_ashrrev_i32_e32 v19, 31, v17
	v_add_co_u32_e64 v18, s[0:1], s10, v17
	v_ashrrev_i32_e32 v20, 31, v3
	v_add_co_u32_e32 v16, vcc, s10, v3
	v_addc_co_u32_e64 v19, s[0:1], v9, v19, s[0:1]
	v_addc_co_u32_e32 v17, vcc, v9, v20, vcc
	global_load_ubyte v3, v[18:19], off
	global_load_ubyte v20, v[16:17], off
	v_add_co_u32_e32 v14, vcc, s2, v14
	v_addc_co_u32_e32 v15, vcc, v10, v15, vcc
	v_add_co_u32_e32 v12, vcc, s2, v12
	v_addc_co_u32_e32 v13, vcc, v10, v13, vcc
	v_cmp_eq_u32_e32 vcc, 0, v11
	s_or_b64 s[12:13], vcc, s[12:13]
	s_waitcnt vmcnt(1)
	global_store_byte v[14:15], v3, off
	s_waitcnt vmcnt(1)
	global_store_byte v[12:13], v20, off
	s_andn2_b64 exec, exec, s[12:13]
	s_cbranch_execnz .LBB2_5
; %bb.6:
	s_or_b64 exec, exec, s[12:13]
	v_mad_u64_u32 v[2:3], s[0:1], v7, s4, v[2:3]
	v_cmp_ne_u32_e32 vcc, v6, v7
	s_and_b64 s[0:1], vcc, exec
	s_or_saveexec_b64 s[6:7], s[6:7]
	v_mov_b32_e32 v6, s5
	s_xor_b64 exec, exec, s[6:7]
	s_cbranch_execz .LBB2_3
.LBB2_7:
	s_abs_i32 s5, s14
	v_cvt_f32_u32_e32 v0, s5
	s_sub_i32 s12, 0, s5
	v_mov_b32_e32 v1, 0
	v_mov_b32_e32 v6, s5
	v_rcp_iflag_f32_e32 v0, v0
	s_or_b64 s[0:1], s[0:1], exec
	v_mul_f32_e32 v0, 0x4f7ffffe, v0
	v_cvt_u32_f32_e32 v0, v0
	v_mul_lo_u32 v3, s12, v0
	v_mul_hi_u32 v3, v0, v3
	v_add_u32_e32 v0, v0, v3
	s_or_b64 exec, exec, s[6:7]
	s_and_b64 exec, exec, s[0:1]
	s_cbranch_execz .LBB2_10
.LBB2_8:
	v_ashrrev_i32_e32 v3, 31, v2
	s_ashr_i32 s5, s4, 31
	v_lshlrev_b64 v[4:5], 2, v[2:3]
	v_mov_b32_e32 v7, s9
	v_add_co_u32_e32 v4, vcc, s8, v4
	s_lshl_b64 s[0:1], s[4:5], 2
	v_addc_co_u32_e32 v5, vcc, v7, v5, vcc
	s_mov_b64 s[6:7], 0
	v_mov_b32_e32 v7, s11
	v_mov_b32_e32 v8, s3
	v_mov_b32_e32 v9, s5
	v_mov_b32_e32 v10, s1
.LBB2_9:                                ; =>This Inner Loop Header: Depth=1
	global_load_dword v11, v[4:5], off
	s_waitcnt vmcnt(0)
	v_add_u32_e32 v11, s15, v11
	v_sub_u32_e32 v12, 0, v11
	v_ashrrev_i32_e32 v14, 31, v11
	v_max_i32_e32 v11, v11, v12
	v_mul_hi_u32 v12, v11, v0
	v_mad_u64_u32 v[12:13], s[8:9], v11, v1, v[12:13]
	v_mul_lo_u32 v12, v12, v6
	v_sub_u32_e32 v11, v11, v12
	v_sub_u32_e32 v12, v11, v6
	v_cmp_ge_u32_e32 vcc, v11, v6
	v_cndmask_b32_e32 v11, v11, v12, vcc
	v_sub_u32_e32 v12, v11, v6
	v_cmp_ge_u32_e32 vcc, v11, v6
	v_cndmask_b32_e32 v11, v11, v12, vcc
	v_xor_b32_e32 v11, v11, v14
	v_sub_u32_e32 v11, v11, v14
	v_ashrrev_i32_e32 v13, 31, v11
	v_add_co_u32_e32 v12, vcc, s10, v11
	v_addc_co_u32_e32 v13, vcc, v7, v13, vcc
	global_load_ubyte v11, v[12:13], off
	v_add_co_u32_e32 v12, vcc, s2, v2
	v_addc_co_u32_e32 v13, vcc, v8, v3, vcc
	v_add_co_u32_e32 v2, vcc, s4, v2
	v_addc_co_u32_e32 v3, vcc, v3, v9, vcc
	;; [unrolled: 2-line block ×3, first 2 shown]
	v_cmp_le_i32_e32 vcc, s14, v2
	s_or_b64 s[6:7], vcc, s[6:7]
	s_waitcnt vmcnt(0)
	global_store_byte v[12:13], v11, off
	s_andn2_b64 exec, exec, s[6:7]
	s_cbranch_execnz .LBB2_9
.LBB2_10:
	s_endpgm
	.section	.rodata,"a",@progbits
	.p2align	6, 0x0
	.amdhsa_kernel _Z20reconstruct_sequencePKiPKcPci
		.amdhsa_group_segment_fixed_size 0
		.amdhsa_private_segment_fixed_size 0
		.amdhsa_kernarg_size 288
		.amdhsa_user_sgpr_count 6
		.amdhsa_user_sgpr_private_segment_buffer 1
		.amdhsa_user_sgpr_dispatch_ptr 0
		.amdhsa_user_sgpr_queue_ptr 0
		.amdhsa_user_sgpr_kernarg_segment_ptr 1
		.amdhsa_user_sgpr_dispatch_id 0
		.amdhsa_user_sgpr_flat_scratch_init 0
		.amdhsa_user_sgpr_kernarg_preload_length 0
		.amdhsa_user_sgpr_kernarg_preload_offset 0
		.amdhsa_user_sgpr_private_segment_size 0
		.amdhsa_uses_dynamic_stack 0
		.amdhsa_system_sgpr_private_segment_wavefront_offset 0
		.amdhsa_system_sgpr_workgroup_id_x 1
		.amdhsa_system_sgpr_workgroup_id_y 0
		.amdhsa_system_sgpr_workgroup_id_z 0
		.amdhsa_system_sgpr_workgroup_info 0
		.amdhsa_system_vgpr_workitem_id 0
		.amdhsa_next_free_vgpr 21
		.amdhsa_next_free_sgpr 19
		.amdhsa_accum_offset 24
		.amdhsa_reserve_vcc 1
		.amdhsa_reserve_flat_scratch 0
		.amdhsa_float_round_mode_32 0
		.amdhsa_float_round_mode_16_64 0
		.amdhsa_float_denorm_mode_32 3
		.amdhsa_float_denorm_mode_16_64 3
		.amdhsa_dx10_clamp 1
		.amdhsa_ieee_mode 1
		.amdhsa_fp16_overflow 0
		.amdhsa_tg_split 0
		.amdhsa_exception_fp_ieee_invalid_op 0
		.amdhsa_exception_fp_denorm_src 0
		.amdhsa_exception_fp_ieee_div_zero 0
		.amdhsa_exception_fp_ieee_overflow 0
		.amdhsa_exception_fp_ieee_underflow 0
		.amdhsa_exception_fp_ieee_inexact 0
		.amdhsa_exception_int_div_zero 0
	.end_amdhsa_kernel
	.text
.Lfunc_end2:
	.size	_Z20reconstruct_sequencePKiPKcPci, .Lfunc_end2-_Z20reconstruct_sequencePKiPKcPci
                                        ; -- End function
	.section	.AMDGPU.csdata,"",@progbits
; Kernel info:
; codeLenInByte = 1064
; NumSgprs: 23
; NumVgprs: 21
; NumAgprs: 0
; TotalNumVgprs: 21
; ScratchSize: 0
; MemoryBound: 0
; FloatMode: 240
; IeeeMode: 1
; LDSByteSize: 0 bytes/workgroup (compile time only)
; SGPRBlocks: 2
; VGPRBlocks: 2
; NumSGPRsForWavesPerEU: 23
; NumVGPRsForWavesPerEU: 21
; AccumOffset: 24
; Occupancy: 8
; WaveLimiterHint : 1
; COMPUTE_PGM_RSRC2:SCRATCH_EN: 0
; COMPUTE_PGM_RSRC2:USER_SGPR: 6
; COMPUTE_PGM_RSRC2:TRAP_HANDLER: 0
; COMPUTE_PGM_RSRC2:TGID_X_EN: 1
; COMPUTE_PGM_RSRC2:TGID_Y_EN: 0
; COMPUTE_PGM_RSRC2:TGID_Z_EN: 0
; COMPUTE_PGM_RSRC2:TIDIG_COMP_CNT: 0
; COMPUTE_PGM_RSRC3_GFX90A:ACCUM_OFFSET: 5
; COMPUTE_PGM_RSRC3_GFX90A:TG_SPLIT: 0
	.text
	.p2alignl 6, 3212836864
	.fill 256, 4, 3212836864
	.type	__hip_cuid_b157e046ffba3398,@object ; @__hip_cuid_b157e046ffba3398
	.section	.bss,"aw",@nobits
	.globl	__hip_cuid_b157e046ffba3398
__hip_cuid_b157e046ffba3398:
	.byte	0                               ; 0x0
	.size	__hip_cuid_b157e046ffba3398, 1

	.ident	"AMD clang version 19.0.0git (https://github.com/RadeonOpenCompute/llvm-project roc-6.4.0 25133 c7fe45cf4b819c5991fe208aaa96edf142730f1d)"
	.section	".note.GNU-stack","",@progbits
	.addrsig
	.addrsig_sym __hip_cuid_b157e046ffba3398
	.amdgpu_metadata
---
amdhsa.kernels:
  - .agpr_count:     0
    .args:
      - .address_space:  global
        .offset:         0
        .size:           8
        .value_kind:     global_buffer
      - .offset:         8
        .size:           4
        .value_kind:     by_value
      - .offset:         12
        .size:           4
        .value_kind:     by_value
      - .offset:         16
        .size:           4
        .value_kind:     hidden_block_count_x
      - .offset:         20
        .size:           4
        .value_kind:     hidden_block_count_y
      - .offset:         24
        .size:           4
        .value_kind:     hidden_block_count_z
      - .offset:         28
        .size:           2
        .value_kind:     hidden_group_size_x
      - .offset:         30
        .size:           2
        .value_kind:     hidden_group_size_y
      - .offset:         32
        .size:           2
        .value_kind:     hidden_group_size_z
      - .offset:         34
        .size:           2
        .value_kind:     hidden_remainder_x
      - .offset:         36
        .size:           2
        .value_kind:     hidden_remainder_y
      - .offset:         38
        .size:           2
        .value_kind:     hidden_remainder_z
      - .offset:         56
        .size:           8
        .value_kind:     hidden_global_offset_x
      - .offset:         64
        .size:           8
        .value_kind:     hidden_global_offset_y
      - .offset:         72
        .size:           8
        .value_kind:     hidden_global_offset_z
      - .offset:         80
        .size:           2
        .value_kind:     hidden_grid_dims
    .group_segment_fixed_size: 0
    .kernarg_segment_align: 8
    .kernarg_segment_size: 272
    .language:       OpenCL C
    .language_version:
      - 2
      - 0
    .max_flat_workgroup_size: 1024
    .name:           _Z14generate_tablePiii
    .private_segment_fixed_size: 0
    .sgpr_count:     19
    .sgpr_spill_count: 0
    .symbol:         _Z14generate_tablePiii.kd
    .uniform_work_group_size: 1
    .uses_dynamic_stack: false
    .vgpr_count:     13
    .vgpr_spill_count: 0
    .wavefront_size: 64
  - .agpr_count:     0
    .args:
      - .address_space:  global
        .offset:         0
        .size:           8
        .value_kind:     global_buffer
      - .offset:         8
        .size:           4
        .value_kind:     by_value
      - .offset:         12
        .size:           4
        .value_kind:     by_value
      - .offset:         16
        .size:           4
        .value_kind:     by_value
      - .actual_access:  read_only
        .address_space:  global
        .offset:         24
        .size:           8
        .value_kind:     global_buffer
      - .offset:         32
        .size:           4
        .value_kind:     by_value
      - .offset:         40
        .size:           4
        .value_kind:     hidden_block_count_x
      - .offset:         44
        .size:           4
        .value_kind:     hidden_block_count_y
      - .offset:         48
        .size:           4
        .value_kind:     hidden_block_count_z
      - .offset:         52
        .size:           2
        .value_kind:     hidden_group_size_x
      - .offset:         54
        .size:           2
        .value_kind:     hidden_group_size_y
      - .offset:         56
        .size:           2
        .value_kind:     hidden_group_size_z
      - .offset:         58
        .size:           2
        .value_kind:     hidden_remainder_x
      - .offset:         60
        .size:           2
        .value_kind:     hidden_remainder_y
      - .offset:         62
        .size:           2
        .value_kind:     hidden_remainder_z
      - .offset:         80
        .size:           8
        .value_kind:     hidden_global_offset_x
      - .offset:         88
        .size:           8
        .value_kind:     hidden_global_offset_y
      - .offset:         96
        .size:           8
        .value_kind:     hidden_global_offset_z
      - .offset:         104
        .size:           2
        .value_kind:     hidden_grid_dims
    .group_segment_fixed_size: 0
    .kernarg_segment_align: 8
    .kernarg_segment_size: 296
    .language:       OpenCL C
    .language_version:
      - 2
      - 0
    .max_flat_workgroup_size: 1024
    .name:           _Z17bitonic_sort_stepPiiiiPKci
    .private_segment_fixed_size: 0
    .sgpr_count:     30
    .sgpr_spill_count: 0
    .symbol:         _Z17bitonic_sort_stepPiiiiPKci.kd
    .uniform_work_group_size: 1
    .uses_dynamic_stack: false
    .vgpr_count:     17
    .vgpr_spill_count: 0
    .wavefront_size: 64
  - .agpr_count:     0
    .args:
      - .actual_access:  read_only
        .address_space:  global
        .offset:         0
        .size:           8
        .value_kind:     global_buffer
      - .actual_access:  read_only
        .address_space:  global
        .offset:         8
        .size:           8
        .value_kind:     global_buffer
      - .actual_access:  write_only
        .address_space:  global
        .offset:         16
        .size:           8
        .value_kind:     global_buffer
      - .offset:         24
        .size:           4
        .value_kind:     by_value
      - .offset:         32
        .size:           4
        .value_kind:     hidden_block_count_x
      - .offset:         36
        .size:           4
        .value_kind:     hidden_block_count_y
      - .offset:         40
        .size:           4
        .value_kind:     hidden_block_count_z
      - .offset:         44
        .size:           2
        .value_kind:     hidden_group_size_x
      - .offset:         46
        .size:           2
        .value_kind:     hidden_group_size_y
      - .offset:         48
        .size:           2
        .value_kind:     hidden_group_size_z
      - .offset:         50
        .size:           2
        .value_kind:     hidden_remainder_x
      - .offset:         52
        .size:           2
        .value_kind:     hidden_remainder_y
      - .offset:         54
        .size:           2
        .value_kind:     hidden_remainder_z
      - .offset:         72
        .size:           8
        .value_kind:     hidden_global_offset_x
      - .offset:         80
        .size:           8
        .value_kind:     hidden_global_offset_y
      - .offset:         88
        .size:           8
        .value_kind:     hidden_global_offset_z
      - .offset:         96
        .size:           2
        .value_kind:     hidden_grid_dims
    .group_segment_fixed_size: 0
    .kernarg_segment_align: 8
    .kernarg_segment_size: 288
    .language:       OpenCL C
    .language_version:
      - 2
      - 0
    .max_flat_workgroup_size: 1024
    .name:           _Z20reconstruct_sequencePKiPKcPci
    .private_segment_fixed_size: 0
    .sgpr_count:     23
    .sgpr_spill_count: 0
    .symbol:         _Z20reconstruct_sequencePKiPKcPci.kd
    .uniform_work_group_size: 1
    .uses_dynamic_stack: false
    .vgpr_count:     21
    .vgpr_spill_count: 0
    .wavefront_size: 64
amdhsa.target:   amdgcn-amd-amdhsa--gfx90a
amdhsa.version:
  - 1
  - 2
...

	.end_amdgpu_metadata
